;; amdgpu-corpus repo=ROCm/rocFFT kind=compiled arch=gfx1100 opt=O3
	.text
	.amdgcn_target "amdgcn-amd-amdhsa--gfx1100"
	.amdhsa_code_object_version 6
	.protected	fft_rtc_fwd_len576_factors_16_6_6_wgs_96_tpt_96_halfLds_half_op_CI_CI_unitstride_sbrr_C2R_dirReg ; -- Begin function fft_rtc_fwd_len576_factors_16_6_6_wgs_96_tpt_96_halfLds_half_op_CI_CI_unitstride_sbrr_C2R_dirReg
	.globl	fft_rtc_fwd_len576_factors_16_6_6_wgs_96_tpt_96_halfLds_half_op_CI_CI_unitstride_sbrr_C2R_dirReg
	.p2align	8
	.type	fft_rtc_fwd_len576_factors_16_6_6_wgs_96_tpt_96_halfLds_half_op_CI_CI_unitstride_sbrr_C2R_dirReg,@function
fft_rtc_fwd_len576_factors_16_6_6_wgs_96_tpt_96_halfLds_half_op_CI_CI_unitstride_sbrr_C2R_dirReg: ; @fft_rtc_fwd_len576_factors_16_6_6_wgs_96_tpt_96_halfLds_half_op_CI_CI_unitstride_sbrr_C2R_dirReg
; %bb.0:
	s_clause 0x2
	s_load_b128 s[8:11], s[0:1], 0x0
	s_load_b128 s[4:7], s[0:1], 0x58
	;; [unrolled: 1-line block ×3, first 2 shown]
	v_mul_u32_u24_e32 v1, 0x2ab, v0
	v_mov_b32_e32 v8, 0
	v_mov_b32_e32 v6, 0
	;; [unrolled: 1-line block ×3, first 2 shown]
	s_delay_alu instid0(VALU_DEP_4) | instskip(NEXT) | instid1(VALU_DEP_1)
	v_lshrrev_b32_e32 v1, 16, v1
	v_dual_mov_b32 v11, v8 :: v_dual_add_nc_u32 v10, s15, v1
	s_waitcnt lgkmcnt(0)
	v_cmp_lt_u64_e64 s2, s[10:11], 2
	s_delay_alu instid0(VALU_DEP_1)
	s_and_b32 vcc_lo, exec_lo, s2
	s_cbranch_vccnz .LBB0_8
; %bb.1:
	s_load_b64 s[2:3], s[0:1], 0x10
	v_mov_b32_e32 v6, 0
	v_mov_b32_e32 v7, 0
	s_add_u32 s12, s18, 8
	s_addc_u32 s13, s19, 0
	s_add_u32 s14, s16, 8
	s_delay_alu instid0(VALU_DEP_1)
	v_dual_mov_b32 v1, v6 :: v_dual_mov_b32 v2, v7
	s_addc_u32 s15, s17, 0
	s_mov_b64 s[22:23], 1
	s_waitcnt lgkmcnt(0)
	s_add_u32 s20, s2, 8
	s_addc_u32 s21, s3, 0
.LBB0_2:                                ; =>This Inner Loop Header: Depth=1
	s_load_b64 s[24:25], s[20:21], 0x0
                                        ; implicit-def: $vgpr3_vgpr4
	s_mov_b32 s2, exec_lo
	s_waitcnt lgkmcnt(0)
	v_or_b32_e32 v9, s25, v11
	s_delay_alu instid0(VALU_DEP_1)
	v_cmpx_ne_u64_e32 0, v[8:9]
	s_xor_b32 s3, exec_lo, s2
	s_cbranch_execz .LBB0_4
; %bb.3:                                ;   in Loop: Header=BB0_2 Depth=1
	v_cvt_f32_u32_e32 v3, s24
	v_cvt_f32_u32_e32 v4, s25
	s_sub_u32 s2, 0, s24
	s_subb_u32 s26, 0, s25
	s_delay_alu instid0(VALU_DEP_1) | instskip(NEXT) | instid1(VALU_DEP_1)
	v_fmac_f32_e32 v3, 0x4f800000, v4
	v_rcp_f32_e32 v3, v3
	s_waitcnt_depctr 0xfff
	v_mul_f32_e32 v3, 0x5f7ffffc, v3
	s_delay_alu instid0(VALU_DEP_1) | instskip(NEXT) | instid1(VALU_DEP_1)
	v_mul_f32_e32 v4, 0x2f800000, v3
	v_trunc_f32_e32 v4, v4
	s_delay_alu instid0(VALU_DEP_1) | instskip(SKIP_1) | instid1(VALU_DEP_2)
	v_fmac_f32_e32 v3, 0xcf800000, v4
	v_cvt_u32_f32_e32 v4, v4
	v_cvt_u32_f32_e32 v3, v3
	s_delay_alu instid0(VALU_DEP_2) | instskip(NEXT) | instid1(VALU_DEP_2)
	v_mul_lo_u32 v5, s2, v4
	v_mul_hi_u32 v9, s2, v3
	v_mul_lo_u32 v12, s26, v3
	s_delay_alu instid0(VALU_DEP_2) | instskip(SKIP_1) | instid1(VALU_DEP_2)
	v_add_nc_u32_e32 v5, v9, v5
	v_mul_lo_u32 v9, s2, v3
	v_add_nc_u32_e32 v5, v5, v12
	s_delay_alu instid0(VALU_DEP_2) | instskip(NEXT) | instid1(VALU_DEP_2)
	v_mul_hi_u32 v12, v3, v9
	v_mul_lo_u32 v13, v3, v5
	v_mul_hi_u32 v14, v3, v5
	v_mul_hi_u32 v15, v4, v9
	v_mul_lo_u32 v9, v4, v9
	v_mul_hi_u32 v16, v4, v5
	v_mul_lo_u32 v5, v4, v5
	v_add_co_u32 v12, vcc_lo, v12, v13
	v_add_co_ci_u32_e32 v13, vcc_lo, 0, v14, vcc_lo
	s_delay_alu instid0(VALU_DEP_2) | instskip(NEXT) | instid1(VALU_DEP_2)
	v_add_co_u32 v9, vcc_lo, v12, v9
	v_add_co_ci_u32_e32 v9, vcc_lo, v13, v15, vcc_lo
	v_add_co_ci_u32_e32 v12, vcc_lo, 0, v16, vcc_lo
	s_delay_alu instid0(VALU_DEP_2) | instskip(NEXT) | instid1(VALU_DEP_2)
	v_add_co_u32 v5, vcc_lo, v9, v5
	v_add_co_ci_u32_e32 v9, vcc_lo, 0, v12, vcc_lo
	s_delay_alu instid0(VALU_DEP_2) | instskip(NEXT) | instid1(VALU_DEP_2)
	v_add_co_u32 v3, vcc_lo, v3, v5
	v_add_co_ci_u32_e32 v4, vcc_lo, v4, v9, vcc_lo
	s_delay_alu instid0(VALU_DEP_2) | instskip(SKIP_1) | instid1(VALU_DEP_3)
	v_mul_hi_u32 v5, s2, v3
	v_mul_lo_u32 v12, s26, v3
	v_mul_lo_u32 v9, s2, v4
	s_delay_alu instid0(VALU_DEP_1) | instskip(SKIP_1) | instid1(VALU_DEP_2)
	v_add_nc_u32_e32 v5, v5, v9
	v_mul_lo_u32 v9, s2, v3
	v_add_nc_u32_e32 v5, v5, v12
	s_delay_alu instid0(VALU_DEP_2) | instskip(NEXT) | instid1(VALU_DEP_2)
	v_mul_hi_u32 v12, v3, v9
	v_mul_lo_u32 v13, v3, v5
	v_mul_hi_u32 v14, v3, v5
	v_mul_hi_u32 v15, v4, v9
	v_mul_lo_u32 v9, v4, v9
	v_mul_hi_u32 v16, v4, v5
	v_mul_lo_u32 v5, v4, v5
	v_add_co_u32 v12, vcc_lo, v12, v13
	v_add_co_ci_u32_e32 v13, vcc_lo, 0, v14, vcc_lo
	s_delay_alu instid0(VALU_DEP_2) | instskip(NEXT) | instid1(VALU_DEP_2)
	v_add_co_u32 v9, vcc_lo, v12, v9
	v_add_co_ci_u32_e32 v9, vcc_lo, v13, v15, vcc_lo
	v_add_co_ci_u32_e32 v12, vcc_lo, 0, v16, vcc_lo
	s_delay_alu instid0(VALU_DEP_2) | instskip(NEXT) | instid1(VALU_DEP_2)
	v_add_co_u32 v5, vcc_lo, v9, v5
	v_add_co_ci_u32_e32 v9, vcc_lo, 0, v12, vcc_lo
	s_delay_alu instid0(VALU_DEP_2) | instskip(NEXT) | instid1(VALU_DEP_2)
	v_add_co_u32 v5, vcc_lo, v3, v5
	v_add_co_ci_u32_e32 v9, vcc_lo, v4, v9, vcc_lo
	s_delay_alu instid0(VALU_DEP_2) | instskip(SKIP_1) | instid1(VALU_DEP_3)
	v_mul_hi_u32 v16, v10, v5
	v_mad_u64_u32 v[12:13], null, v11, v5, 0
	v_mad_u64_u32 v[3:4], null, v10, v9, 0
	;; [unrolled: 1-line block ×3, first 2 shown]
	s_delay_alu instid0(VALU_DEP_2) | instskip(NEXT) | instid1(VALU_DEP_3)
	v_add_co_u32 v3, vcc_lo, v16, v3
	v_add_co_ci_u32_e32 v4, vcc_lo, 0, v4, vcc_lo
	s_delay_alu instid0(VALU_DEP_2) | instskip(NEXT) | instid1(VALU_DEP_2)
	v_add_co_u32 v3, vcc_lo, v3, v12
	v_add_co_ci_u32_e32 v3, vcc_lo, v4, v13, vcc_lo
	v_add_co_ci_u32_e32 v4, vcc_lo, 0, v15, vcc_lo
	s_delay_alu instid0(VALU_DEP_2) | instskip(NEXT) | instid1(VALU_DEP_2)
	v_add_co_u32 v5, vcc_lo, v3, v14
	v_add_co_ci_u32_e32 v9, vcc_lo, 0, v4, vcc_lo
	s_delay_alu instid0(VALU_DEP_2) | instskip(SKIP_1) | instid1(VALU_DEP_3)
	v_mul_lo_u32 v12, s25, v5
	v_mad_u64_u32 v[3:4], null, s24, v5, 0
	v_mul_lo_u32 v13, s24, v9
	s_delay_alu instid0(VALU_DEP_2) | instskip(NEXT) | instid1(VALU_DEP_2)
	v_sub_co_u32 v3, vcc_lo, v10, v3
	v_add3_u32 v4, v4, v13, v12
	s_delay_alu instid0(VALU_DEP_1) | instskip(NEXT) | instid1(VALU_DEP_1)
	v_sub_nc_u32_e32 v12, v11, v4
	v_subrev_co_ci_u32_e64 v12, s2, s25, v12, vcc_lo
	v_add_co_u32 v13, s2, v5, 2
	s_delay_alu instid0(VALU_DEP_1) | instskip(SKIP_3) | instid1(VALU_DEP_3)
	v_add_co_ci_u32_e64 v14, s2, 0, v9, s2
	v_sub_co_u32 v15, s2, v3, s24
	v_sub_co_ci_u32_e32 v4, vcc_lo, v11, v4, vcc_lo
	v_subrev_co_ci_u32_e64 v12, s2, 0, v12, s2
	v_cmp_le_u32_e32 vcc_lo, s24, v15
	s_delay_alu instid0(VALU_DEP_3) | instskip(SKIP_1) | instid1(VALU_DEP_4)
	v_cmp_eq_u32_e64 s2, s25, v4
	v_cndmask_b32_e64 v15, 0, -1, vcc_lo
	v_cmp_le_u32_e32 vcc_lo, s25, v12
	v_cndmask_b32_e64 v16, 0, -1, vcc_lo
	v_cmp_le_u32_e32 vcc_lo, s24, v3
	;; [unrolled: 2-line block ×3, first 2 shown]
	v_cndmask_b32_e64 v17, 0, -1, vcc_lo
	v_cmp_eq_u32_e32 vcc_lo, s25, v12
	s_delay_alu instid0(VALU_DEP_2) | instskip(SKIP_3) | instid1(VALU_DEP_3)
	v_cndmask_b32_e64 v3, v17, v3, s2
	v_cndmask_b32_e32 v12, v16, v15, vcc_lo
	v_add_co_u32 v15, vcc_lo, v5, 1
	v_add_co_ci_u32_e32 v16, vcc_lo, 0, v9, vcc_lo
	v_cmp_ne_u32_e32 vcc_lo, 0, v12
	s_delay_alu instid0(VALU_DEP_3) | instskip(NEXT) | instid1(VALU_DEP_3)
	v_cndmask_b32_e32 v12, v15, v13, vcc_lo
	v_cndmask_b32_e32 v4, v16, v14, vcc_lo
	v_cmp_ne_u32_e32 vcc_lo, 0, v3
	s_delay_alu instid0(VALU_DEP_2) | instskip(NEXT) | instid1(VALU_DEP_4)
	v_cndmask_b32_e32 v4, v9, v4, vcc_lo
	v_cndmask_b32_e32 v3, v5, v12, vcc_lo
.LBB0_4:                                ;   in Loop: Header=BB0_2 Depth=1
	s_and_not1_saveexec_b32 s2, s3
	s_cbranch_execz .LBB0_6
; %bb.5:                                ;   in Loop: Header=BB0_2 Depth=1
	v_cvt_f32_u32_e32 v3, s24
	s_sub_i32 s3, 0, s24
	s_delay_alu instid0(VALU_DEP_1) | instskip(SKIP_2) | instid1(VALU_DEP_1)
	v_rcp_iflag_f32_e32 v3, v3
	s_waitcnt_depctr 0xfff
	v_mul_f32_e32 v3, 0x4f7ffffe, v3
	v_cvt_u32_f32_e32 v3, v3
	s_delay_alu instid0(VALU_DEP_1) | instskip(NEXT) | instid1(VALU_DEP_1)
	v_mul_lo_u32 v4, s3, v3
	v_mul_hi_u32 v4, v3, v4
	s_delay_alu instid0(VALU_DEP_1) | instskip(NEXT) | instid1(VALU_DEP_1)
	v_add_nc_u32_e32 v3, v3, v4
	v_mul_hi_u32 v3, v10, v3
	s_delay_alu instid0(VALU_DEP_1) | instskip(SKIP_1) | instid1(VALU_DEP_2)
	v_mul_lo_u32 v4, v3, s24
	v_add_nc_u32_e32 v5, 1, v3
	v_sub_nc_u32_e32 v4, v10, v4
	s_delay_alu instid0(VALU_DEP_1) | instskip(SKIP_1) | instid1(VALU_DEP_2)
	v_subrev_nc_u32_e32 v9, s24, v4
	v_cmp_le_u32_e32 vcc_lo, s24, v4
	v_cndmask_b32_e32 v4, v4, v9, vcc_lo
	v_cndmask_b32_e32 v3, v3, v5, vcc_lo
	s_delay_alu instid0(VALU_DEP_2) | instskip(NEXT) | instid1(VALU_DEP_2)
	v_cmp_le_u32_e32 vcc_lo, s24, v4
	v_dual_mov_b32 v4, v8 :: v_dual_add_nc_u32 v5, 1, v3
	s_delay_alu instid0(VALU_DEP_1)
	v_cndmask_b32_e32 v3, v3, v5, vcc_lo
.LBB0_6:                                ;   in Loop: Header=BB0_2 Depth=1
	s_or_b32 exec_lo, exec_lo, s2
	s_delay_alu instid0(VALU_DEP_2) | instskip(NEXT) | instid1(VALU_DEP_2)
	v_mul_lo_u32 v5, v4, s24
	v_mul_lo_u32 v9, v3, s25
	s_load_b64 s[2:3], s[14:15], 0x0
	v_mad_u64_u32 v[12:13], null, v3, s24, 0
	s_load_b64 s[24:25], s[12:13], 0x0
	s_add_u32 s22, s22, 1
	s_addc_u32 s23, s23, 0
	s_add_u32 s12, s12, 8
	s_addc_u32 s13, s13, 0
	s_add_u32 s14, s14, 8
	s_delay_alu instid0(VALU_DEP_1) | instskip(SKIP_3) | instid1(VALU_DEP_2)
	v_add3_u32 v5, v13, v9, v5
	v_sub_co_u32 v13, vcc_lo, v10, v12
	s_addc_u32 s15, s15, 0
	s_add_u32 s20, s20, 8
	v_sub_co_ci_u32_e32 v5, vcc_lo, v11, v5, vcc_lo
	s_addc_u32 s21, s21, 0
	s_waitcnt lgkmcnt(0)
	s_delay_alu instid0(VALU_DEP_1)
	v_mul_lo_u32 v14, s2, v5
	v_mul_lo_u32 v15, s3, v13
	v_mad_u64_u32 v[9:10], null, s2, v13, v[6:7]
	v_mul_lo_u32 v5, s24, v5
	v_mul_lo_u32 v16, s25, v13
	v_mad_u64_u32 v[11:12], null, s24, v13, v[1:2]
	v_cmp_ge_u64_e64 s2, s[22:23], s[10:11]
	v_add3_u32 v7, v15, v10, v14
	s_delay_alu instid0(VALU_DEP_3) | instskip(NEXT) | instid1(VALU_DEP_4)
	v_dual_mov_b32 v6, v9 :: v_dual_mov_b32 v1, v11
	v_add3_u32 v2, v16, v12, v5
	s_delay_alu instid0(VALU_DEP_4)
	s_and_b32 vcc_lo, exec_lo, s2
	s_cbranch_vccnz .LBB0_9
; %bb.7:                                ;   in Loop: Header=BB0_2 Depth=1
	v_dual_mov_b32 v11, v4 :: v_dual_mov_b32 v10, v3
	s_branch .LBB0_2
.LBB0_8:
	v_dual_mov_b32 v1, v6 :: v_dual_mov_b32 v2, v7
	v_dual_mov_b32 v3, v10 :: v_dual_mov_b32 v4, v11
.LBB0_9:
	s_load_b64 s[0:1], s[0:1], 0x28
	v_mul_hi_u32 v8, 0x2aaaaab, v0
	s_lshl_b64 s[10:11], s[10:11], 3
                                        ; implicit-def: $vgpr5
	s_delay_alu instid0(SALU_CYCLE_1) | instskip(SKIP_4) | instid1(VALU_DEP_1)
	s_add_u32 s2, s18, s10
	s_addc_u32 s3, s19, s11
	s_waitcnt lgkmcnt(0)
	v_cmp_gt_u64_e32 vcc_lo, s[0:1], v[3:4]
	v_cmp_le_u64_e64 s0, s[0:1], v[3:4]
	s_and_saveexec_b32 s1, s0
	s_delay_alu instid0(SALU_CYCLE_1)
	s_xor_b32 s0, exec_lo, s1
; %bb.10:
	v_mul_u32_u24_e32 v5, 0x60, v8
                                        ; implicit-def: $vgpr8
                                        ; implicit-def: $vgpr6_vgpr7
	s_delay_alu instid0(VALU_DEP_1)
	v_sub_nc_u32_e32 v5, v0, v5
                                        ; implicit-def: $vgpr0
; %bb.11:
	s_or_saveexec_b32 s1, s0
	s_load_b64 s[2:3], s[2:3], 0x0
	s_xor_b32 exec_lo, exec_lo, s1
	s_cbranch_execz .LBB0_15
; %bb.12:
	s_add_u32 s10, s16, s10
	s_addc_u32 s11, s17, s11
	v_lshlrev_b64 v[6:7], 2, v[6:7]
	s_load_b64 s[10:11], s[10:11], 0x0
	s_waitcnt lgkmcnt(0)
	v_mul_lo_u32 v5, s11, v3
	v_mul_lo_u32 v11, s10, v4
	v_mad_u64_u32 v[9:10], null, s10, v3, 0
	s_delay_alu instid0(VALU_DEP_1) | instskip(SKIP_1) | instid1(VALU_DEP_2)
	v_add3_u32 v10, v10, v11, v5
	v_mul_u32_u24_e32 v5, 0x60, v8
	v_lshlrev_b64 v[8:9], 2, v[9:10]
	s_delay_alu instid0(VALU_DEP_2) | instskip(NEXT) | instid1(VALU_DEP_1)
	v_sub_nc_u32_e32 v5, v0, v5
	v_lshlrev_b32_e32 v10, 2, v5
	s_delay_alu instid0(VALU_DEP_3) | instskip(NEXT) | instid1(VALU_DEP_1)
	v_add_co_u32 v0, s0, s4, v8
	v_add_co_ci_u32_e64 v8, s0, s5, v9, s0
	s_mov_b32 s4, exec_lo
	s_delay_alu instid0(VALU_DEP_2) | instskip(NEXT) | instid1(VALU_DEP_1)
	v_add_co_u32 v6, s0, v0, v6
	v_add_co_ci_u32_e64 v7, s0, v8, v7, s0
	s_delay_alu instid0(VALU_DEP_2) | instskip(NEXT) | instid1(VALU_DEP_1)
	v_add_co_u32 v8, s0, v6, v10
	v_add_co_ci_u32_e64 v9, s0, 0, v7, s0
	s_clause 0x5
	global_load_b32 v0, v[8:9], off
	global_load_b32 v11, v[8:9], off offset:384
	global_load_b32 v12, v[8:9], off offset:768
	;; [unrolled: 1-line block ×5, first 2 shown]
	v_add_nc_u32_e32 v9, 0, v10
	s_delay_alu instid0(VALU_DEP_1)
	v_add_nc_u32_e32 v10, 0x200, v9
	v_add_nc_u32_e32 v15, 0x400, v9
	s_waitcnt vmcnt(4)
	ds_store_2addr_b32 v9, v0, v11 offset1:96
	s_waitcnt vmcnt(2)
	ds_store_2addr_b32 v10, v12, v13 offset0:64 offset1:160
	s_waitcnt vmcnt(0)
	ds_store_2addr_b32 v15, v14, v8 offset0:128 offset1:224
	v_cmpx_eq_u32_e32 0x5f, v5
	s_cbranch_execz .LBB0_14
; %bb.13:
	global_load_b32 v0, v[6:7], off offset:2304
	v_dual_mov_b32 v6, 0 :: v_dual_mov_b32 v5, 0x5f
	s_waitcnt vmcnt(0)
	ds_store_b32 v6, v0 offset:2304
.LBB0_14:
	s_or_b32 exec_lo, exec_lo, s4
.LBB0_15:
	s_delay_alu instid0(SALU_CYCLE_1)
	s_or_b32 exec_lo, exec_lo, s1
	v_lshlrev_b32_e32 v6, 2, v5
	s_waitcnt lgkmcnt(0)
	s_barrier
	buffer_gl0_inv
	s_mov_b32 s1, exec_lo
	v_add_nc_u32_e32 v0, 0, v6
	v_sub_nc_u32_e32 v8, 0, v6
	ds_load_u16 v6, v0
	ds_load_u16 v7, v8 offset:2304
	s_waitcnt lgkmcnt(0)
	v_add_f16_e32 v10, v7, v6
	v_sub_f16_e32 v9, v6, v7
                                        ; implicit-def: $vgpr6_vgpr7
	v_cmpx_ne_u32_e32 0, v5
	s_xor_b32 s1, exec_lo, s1
	s_cbranch_execz .LBB0_17
; %bb.16:
	v_mov_b32_e32 v6, 0
	s_delay_alu instid0(VALU_DEP_1) | instskip(NEXT) | instid1(VALU_DEP_1)
	v_lshlrev_b64 v[11:12], 2, v[5:6]
	v_add_co_u32 v11, s0, s8, v11
	s_delay_alu instid0(VALU_DEP_1)
	v_add_co_ci_u32_e64 v12, s0, s9, v12, s0
	global_load_b32 v7, v[11:12], off offset:2240
	ds_load_u16 v11, v8 offset:2306
	ds_load_u16 v12, v0 offset:2
	s_waitcnt lgkmcnt(0)
	v_add_f16_e32 v13, v11, v12
	v_sub_f16_e32 v11, v12, v11
	s_waitcnt vmcnt(0)
	v_lshrrev_b32_e32 v14, 16, v7
	s_delay_alu instid0(VALU_DEP_1) | instskip(NEXT) | instid1(VALU_DEP_3)
	v_fma_f16 v12, v9, v14, v10
	v_fma_f16 v15, v13, v14, v11
	v_fma_f16 v10, -v9, v14, v10
	v_fma_f16 v11, v13, v14, -v11
	s_delay_alu instid0(VALU_DEP_4) | instskip(NEXT) | instid1(VALU_DEP_4)
	v_fma_f16 v12, -v7, v13, v12
	v_fmac_f16_e32 v15, v9, v7
	s_delay_alu instid0(VALU_DEP_4) | instskip(NEXT) | instid1(VALU_DEP_4)
	v_fmac_f16_e32 v10, v7, v13
	v_fmac_f16_e32 v11, v9, v7
	v_mov_b32_e32 v7, v6
	v_mov_b32_e32 v6, v5
	v_pack_b32_f16 v9, v12, v15
	s_delay_alu instid0(VALU_DEP_4)
	v_pack_b32_f16 v10, v10, v11
	ds_store_b32 v0, v9
	ds_store_b32 v8, v10 offset:2304
                                        ; implicit-def: $vgpr10
                                        ; implicit-def: $vgpr9
.LBB0_17:
	s_and_not1_saveexec_b32 s0, s1
	s_cbranch_execz .LBB0_19
; %bb.18:
	v_pack_b32_f16 v6, v10, v9
	v_mov_b32_e32 v9, 0
	ds_store_b32 v0, v6
	ds_load_b32 v6, v9 offset:1152
	s_waitcnt lgkmcnt(0)
	v_pk_mul_f16 v10, 0xc0004000, v6
	v_mov_b32_e32 v6, 0
	v_mov_b32_e32 v7, 0
	ds_store_b32 v9, v10 offset:1152
.LBB0_19:
	s_or_b32 exec_lo, exec_lo, s0
	v_lshlrev_b64 v[6:7], 2, v[6:7]
	s_add_u32 s0, s8, 0x8c0
	s_addc_u32 s1, s9, 0
	v_add_nc_u32_e32 v22, 0x400, v0
	v_add_nc_u32_e32 v16, 0x600, v0
	s_delay_alu instid0(VALU_DEP_3) | instskip(NEXT) | instid1(VALU_DEP_1)
	v_add_co_u32 v6, s0, s0, v6
	v_add_co_ci_u32_e64 v7, s0, s1, v7, s0
	s_mov_b32 s1, exec_lo
	s_clause 0x1
	global_load_b32 v9, v[6:7], off offset:384
	global_load_b32 v6, v[6:7], off offset:768
	ds_load_b32 v7, v0 offset:384
	ds_load_b32 v10, v8 offset:1920
	s_waitcnt lgkmcnt(1)
	v_lshrrev_b32_e32 v11, 16, v7
	s_waitcnt lgkmcnt(0)
	v_lshrrev_b32_e32 v12, 16, v10
	v_add_f16_e32 v13, v7, v10
	v_sub_f16_e32 v7, v7, v10
	s_delay_alu instid0(VALU_DEP_3) | instskip(SKIP_3) | instid1(VALU_DEP_1)
	v_add_f16_e32 v10, v12, v11
	v_sub_f16_e32 v11, v11, v12
	s_waitcnt vmcnt(1)
	v_lshrrev_b32_e32 v14, 16, v9
	v_fma_f16 v12, v7, v14, v13
	s_delay_alu instid0(VALU_DEP_3) | instskip(SKIP_2) | instid1(VALU_DEP_4)
	v_fma_f16 v15, v10, v14, v11
	v_fma_f16 v13, -v7, v14, v13
	v_fma_f16 v11, v10, v14, -v11
	v_fma_f16 v12, -v9, v10, v12
	s_delay_alu instid0(VALU_DEP_4) | instskip(NEXT) | instid1(VALU_DEP_4)
	v_fmac_f16_e32 v15, v7, v9
	v_fmac_f16_e32 v13, v9, v10
	s_delay_alu instid0(VALU_DEP_4) | instskip(NEXT) | instid1(VALU_DEP_3)
	v_fmac_f16_e32 v11, v7, v9
	v_pack_b32_f16 v7, v12, v15
	s_waitcnt vmcnt(0)
	v_lshrrev_b32_e32 v12, 16, v6
	s_delay_alu instid0(VALU_DEP_3)
	v_pack_b32_f16 v9, v13, v11
	ds_store_b32 v0, v7 offset:384
	ds_store_b32 v8, v9 offset:1920
	ds_load_b32 v7, v0 offset:768
	ds_load_b32 v9, v8 offset:1536
	s_waitcnt lgkmcnt(1)
	v_lshrrev_b32_e32 v10, 16, v7
	s_waitcnt lgkmcnt(0)
	v_lshrrev_b32_e32 v11, 16, v9
	v_add_f16_e32 v13, v7, v9
	v_sub_f16_e32 v7, v7, v9
	s_delay_alu instid0(VALU_DEP_3) | instskip(SKIP_1) | instid1(VALU_DEP_3)
	v_add_f16_e32 v9, v11, v10
	v_sub_f16_e32 v10, v10, v11
	v_fma_f16 v11, v7, v12, v13
	v_fma_f16 v13, -v7, v12, v13
	s_delay_alu instid0(VALU_DEP_3) | instskip(SKIP_1) | instid1(VALU_DEP_4)
	v_fma_f16 v14, v9, v12, v10
	v_fma_f16 v10, v9, v12, -v10
	v_fma_f16 v11, -v6, v9, v11
	s_delay_alu instid0(VALU_DEP_4) | instskip(NEXT) | instid1(VALU_DEP_4)
	v_fmac_f16_e32 v13, v6, v9
	v_fmac_f16_e32 v14, v7, v6
	s_delay_alu instid0(VALU_DEP_4) | instskip(NEXT) | instid1(VALU_DEP_2)
	v_fmac_f16_e32 v10, v7, v6
	v_pack_b32_f16 v6, v11, v14
	s_delay_alu instid0(VALU_DEP_2)
	v_pack_b32_f16 v7, v13, v10
	ds_store_b32 v0, v6 offset:768
	ds_store_b32 v8, v7 offset:1536
	s_waitcnt lgkmcnt(0)
	s_barrier
	buffer_gl0_inv
	s_barrier
	buffer_gl0_inv
	ds_load_2addr_b32 v[6:7], v0 offset1:36
	ds_load_2addr_b32 v[10:11], v0 offset0:72 offset1:108
	ds_load_2addr_b32 v[8:9], v0 offset0:144 offset1:180
	ds_load_2addr_b32 v[12:13], v0 offset0:216 offset1:252
	ds_load_2addr_b32 v[18:19], v22 offset0:32 offset1:68
	ds_load_2addr_b32 v[14:15], v22 offset0:104 offset1:140
	ds_load_2addr_b32 v[20:21], v22 offset0:176 offset1:212
	ds_load_2addr_b32 v[16:17], v16 offset0:120 offset1:156
	s_waitcnt lgkmcnt(0)
	s_barrier
	buffer_gl0_inv
	v_cmpx_gt_u32_e32 36, v5
	s_cbranch_execz .LBB0_21
; %bb.20:
	v_pk_add_f16 v20, v8, v20 neg_lo:[0,1] neg_hi:[0,1]
	v_pk_add_f16 v16, v12, v16 neg_lo:[0,1] neg_hi:[0,1]
	;; [unrolled: 1-line block ×6, first 2 shown]
	v_lshrrev_b32_e32 v23, 16, v20
	v_pk_add_f16 v19, v7, v19 neg_lo:[0,1] neg_hi:[0,1]
	v_lshrrev_b32_e32 v24, 16, v16
	v_lshrrev_b32_e32 v25, 16, v21
	v_pk_add_f16 v15, v11, v15 neg_lo:[0,1] neg_hi:[0,1]
	v_lshrrev_b32_e32 v26, 16, v17
	v_sub_f16_e32 v23, v18, v23
	v_sub_f16_e32 v24, v14, v24
	v_lshrrev_b32_e32 v27, 16, v14
	v_sub_f16_e32 v25, v19, v25
	v_lshrrev_b32_e32 v28, 16, v15
	v_lshrrev_b32_e32 v29, 16, v19
	v_sub_f16_e32 v26, v15, v26
	v_fmamk_f16 v30, v24, 0x39a8, v23
	v_add_f16_e32 v31, v27, v16
	v_add_f16_e32 v32, v28, v17
	;; [unrolled: 1-line block ×3, first 2 shown]
	v_fmamk_f16 v34, v26, 0x39a8, v25
	v_lshrrev_b32_e32 v38, 16, v18
	v_fmac_f16_e32 v30, 0xb9a8, v31
	v_fma_f16 v42, v14, 2.0, -v24
	v_fmamk_f16 v35, v32, 0x39a8, v33
	v_fmac_f16_e32 v34, 0xb9a8, v32
	v_add_f16_e32 v41, v38, v20
	v_fma_f16 v36, v23, 2.0, -v30
	v_fma_f16 v23, v18, 2.0, -v23
	v_fmac_f16_e32 v35, 0x39a8, v26
	v_fma_f16 v37, v25, 2.0, -v34
	v_fma_f16 v25, v19, 2.0, -v25
	v_fma_f16 v26, v15, 2.0, -v26
	v_fma_f16 v27, v27, 2.0, -v31
	v_fma_f16 v39, v33, 2.0, -v35
	v_fma_f16 v28, v28, 2.0, -v32
	v_fma_f16 v29, v29, 2.0, -v33
	v_fma_f16 v32, v38, 2.0, -v41
	v_fmamk_f16 v33, v42, 0xb9a8, v23
	v_fmamk_f16 v38, v26, 0xb9a8, v25
	;; [unrolled: 1-line block ×5, first 2 shown]
	v_fmac_f16_e32 v33, 0xb9a8, v27
	v_fmac_f16_e32 v38, 0xb9a8, v28
	v_pk_fma_f16 v10, v10, 2.0, v14 op_sel_hi:[1,0,1] neg_lo:[0,0,1] neg_hi:[0,0,1]
	v_pk_fma_f16 v12, v12, 2.0, v16 op_sel_hi:[1,0,1] neg_lo:[0,0,1] neg_hi:[0,0,1]
	;; [unrolled: 1-line block ×4, first 2 shown]
	v_fmac_f16_e32 v43, 0x39a8, v26
	v_fmac_f16_e32 v44, 0x39a8, v42
	v_fma_f16 v23, v23, 2.0, -v33
	v_fma_f16 v25, v25, 2.0, -v38
	v_pk_fma_f16 v6, v6, 2.0, v18 op_sel_hi:[1,0,1] neg_lo:[0,0,1] neg_hi:[0,0,1]
	v_pk_fma_f16 v8, v8, 2.0, v20 op_sel_hi:[1,0,1] neg_lo:[0,0,1] neg_hi:[0,0,1]
	;; [unrolled: 1-line block ×4, first 2 shown]
	v_fmac_f16_e32 v31, 0x39a8, v24
	v_pk_add_f16 v12, v10, v12 neg_lo:[0,1] neg_hi:[0,1]
	v_pk_add_f16 v13, v11, v13 neg_lo:[0,1] neg_hi:[0,1]
	v_fmamk_f16 v28, v38, 0x361f, v33
	v_fma_f16 v29, v29, 2.0, -v43
	v_fma_f16 v14, v32, 2.0, -v44
	v_pk_add_f16 v8, v6, v8 neg_lo:[0,1] neg_hi:[0,1]
	v_pk_add_f16 v9, v7, v9 neg_lo:[0,1] neg_hi:[0,1]
	v_fmamk_f16 v18, v25, 0xbb64, v23
	v_fmamk_f16 v40, v37, 0xb61f, v36
	v_fma_f16 v24, v41, 2.0, -v31
	v_lshrrev_b32_e32 v15, 16, v12
	v_lshrrev_b32_e32 v16, 16, v13
	v_fmamk_f16 v27, v35, 0x3b64, v31
	v_fmac_f16_e32 v28, 0xbb64, v43
	v_fmamk_f16 v19, v29, 0xbb64, v14
	v_lshrrev_b32_e32 v20, 16, v9
	v_fmac_f16_e32 v18, 0xb61f, v29
	v_lshrrev_b32_e32 v29, 16, v8
	v_fmac_f16_e32 v40, 0xbb64, v39
	v_fmamk_f16 v39, v39, 0xb61f, v24
	v_sub_f16_e32 v15, v8, v15
	v_sub_f16_e32 v16, v9, v16
	v_fmamk_f16 v26, v34, 0x3b64, v30
	v_fmac_f16_e32 v27, 0x361f, v34
	v_fma_f16 v34, v33, 2.0, -v28
	v_fmac_f16_e32 v19, 0x361f, v25
	v_add_f16_e32 v25, v20, v13
	v_add_f16_e32 v33, v29, v12
	v_fmac_f16_e32 v39, 0x3b64, v37
	v_fma_f16 v17, v36, 2.0, -v40
	v_fma_f16 v36, v8, 2.0, -v15
	;; [unrolled: 1-line block ×3, first 2 shown]
	v_pk_fma_f16 v6, v6, 2.0, v8 op_sel_hi:[1,0,1] neg_lo:[0,0,1] neg_hi:[0,0,1]
	v_pk_fma_f16 v7, v7, 2.0, v9 op_sel_hi:[1,0,1] neg_lo:[0,0,1] neg_hi:[0,0,1]
	;; [unrolled: 1-line block ×4, first 2 shown]
	v_fma_f16 v20, v20, 2.0, -v25
	v_fma_f16 v10, v29, 2.0, -v33
	v_fmamk_f16 v11, v25, 0x39a8, v33
	v_fmamk_f16 v12, v37, 0xb9a8, v36
	v_pk_add_f16 v8, v7, v8 neg_lo:[0,1] neg_hi:[0,1]
	v_pk_add_f16 v9, v6, v9 neg_lo:[0,1] neg_hi:[0,1]
	v_fmamk_f16 v13, v20, 0xb9a8, v10
	v_fmamk_f16 v41, v43, 0x361f, v44
	v_fma_f16 v21, v24, 2.0, -v39
	v_fmamk_f16 v24, v16, 0x39a8, v15
	v_fmac_f16_e32 v11, 0x39a8, v16
	v_fmac_f16_e32 v12, 0xb9a8, v20
	v_lshrrev_b32_e32 v16, 16, v8
	v_lshrrev_b32_e32 v20, 16, v9
	v_pk_fma_f16 v6, v6, 2.0, v9 op_sel_hi:[1,0,1] neg_lo:[0,0,1] neg_hi:[0,0,1]
	v_pk_fma_f16 v7, v7, 2.0, v8 op_sel_hi:[1,0,1] neg_lo:[0,0,1] neg_hi:[0,0,1]
	v_fmac_f16_e32 v13, 0x39a8, v37
	v_fmac_f16_e32 v41, 0x3b64, v38
	v_sub_f16_e32 v16, v9, v16
	v_add_f16_e32 v8, v20, v8
	v_fmac_f16_e32 v26, 0xb61f, v35
	v_fmac_f16_e32 v24, 0xb9a8, v25
	v_fma_f16 v23, v23, 2.0, -v18
	v_fma_f16 v14, v14, 2.0, -v19
	v_pk_add_f16 v7, v6, v7 neg_lo:[0,1] neg_hi:[0,1]
	v_fma_f16 v25, v36, 2.0, -v12
	v_fma_f16 v10, v10, 2.0, -v13
	v_fma_f16 v35, v44, 2.0, -v41
	v_fma_f16 v9, v9, 2.0, -v16
	v_fma_f16 v20, v20, 2.0, -v8
	v_fma_f16 v30, v30, 2.0, -v26
	v_fma_f16 v31, v31, 2.0, -v27
	v_fma_f16 v15, v15, 2.0, -v24
	v_fma_f16 v29, v33, 2.0, -v11
	v_mad_u32_u24 v32, v5, 60, v0
	v_pk_fma_f16 v6, v6, 2.0, v7 op_sel_hi:[1,0,1] neg_lo:[0,0,1] neg_hi:[0,0,1]
	v_pack_b32_f16 v14, v23, v14
	v_pack_b32_f16 v17, v17, v21
	;; [unrolled: 1-line block ×14, first 2 shown]
	ds_store_2addr_b32 v32, v6, v14 offset1:1
	ds_store_2addr_b32 v32, v10, v17 offset0:2 offset1:3
	ds_store_2addr_b32 v32, v9, v20 offset0:4 offset1:5
	;; [unrolled: 1-line block ×7, first 2 shown]
.LBB0_21:
	s_or_b32 exec_lo, exec_lo, s1
	v_and_b32_e32 v16, 15, v5
	s_waitcnt lgkmcnt(0)
	s_barrier
	buffer_gl0_inv
	v_add_nc_u32_e32 v18, 0x200, v0
	v_mul_u32_u24_e32 v6, 5, v16
	v_lshrrev_b32_e32 v19, 4, v5
	v_mul_u32_u24_e32 v20, 5, v5
	s_delay_alu instid0(VALU_DEP_3) | instskip(NEXT) | instid1(VALU_DEP_3)
	v_lshlrev_b32_e32 v10, 2, v6
	v_mul_u32_u24_e32 v19, 0x60, v19
	s_clause 0x1
	global_load_b128 v[6:9], v10, s[8:9]
	global_load_b32 v17, v10, s[8:9] offset:16
	ds_load_2addr_b32 v[10:11], v0 offset1:96
	ds_load_2addr_b32 v[12:13], v22 offset0:128 offset1:224
	ds_load_2addr_b32 v[14:15], v18 offset0:64 offset1:160
	v_or_b32_e32 v16, v19, v16
	v_lshlrev_b32_e32 v19, 2, v20
	s_waitcnt vmcnt(0) lgkmcnt(0)
	s_barrier
	buffer_gl0_inv
	v_lshl_add_u32 v16, v16, 2, 0
	v_lshrrev_b32_e32 v21, 16, v11
	v_lshrrev_b32_e32 v23, 16, v12
	;; [unrolled: 1-line block ×11, first 2 shown]
	v_mul_f16_e32 v32, v27, v21
	v_mul_f16_e32 v27, v27, v11
	;; [unrolled: 1-line block ×10, first 2 shown]
	v_fma_f16 v11, v6, v11, -v32
	v_fmac_f16_e32 v27, v6, v21
	v_fma_f16 v6, v7, v14, -v33
	v_fmac_f16_e32 v28, v7, v25
	;; [unrolled: 2-line block ×5, first 2 shown]
	v_add_f16_e32 v12, v10, v6
	v_add_f16_e32 v13, v6, v8
	;; [unrolled: 1-line block ×5, first 2 shown]
	v_sub_f16_e32 v14, v28, v30
	v_add_f16_e32 v15, v20, v28
	v_sub_f16_e32 v6, v6, v8
	v_add_f16_e32 v21, v11, v7
	;; [unrolled: 2-line block ×3, first 2 shown]
	v_sub_f16_e32 v7, v7, v9
	v_fmac_f16_e32 v10, -0.5, v13
	v_fmac_f16_e32 v20, -0.5, v17
	;; [unrolled: 1-line block ×4, first 2 shown]
	v_add_f16_e32 v8, v12, v8
	v_add_f16_e32 v12, v15, v30
	;; [unrolled: 1-line block ×3, first 2 shown]
	v_fmamk_f16 v15, v14, 0x3aee, v10
	v_fmac_f16_e32 v10, 0xbaee, v14
	v_fmamk_f16 v14, v6, 0xbaee, v20
	v_fmac_f16_e32 v20, 0x3aee, v6
	v_fmamk_f16 v6, v24, 0x3aee, v11
	v_fmamk_f16 v17, v7, 0xbaee, v27
	v_fmac_f16_e32 v11, 0xbaee, v24
	v_fmac_f16_e32 v27, 0x3aee, v7
	v_add_f16_e32 v13, v25, v31
	v_add_f16_e32 v7, v8, v9
	v_sub_f16_e32 v8, v8, v9
	v_mul_f16_e32 v9, 0x3aee, v17
	v_mul_f16_e32 v24, 0xbaee, v6
	v_mul_f16_e32 v23, -0.5, v11
	v_mul_f16_e32 v25, -0.5, v27
	v_add_f16_e32 v21, v12, v13
	v_fmac_f16_e32 v9, 0.5, v6
	v_fmac_f16_e32 v24, 0.5, v17
	v_fmac_f16_e32 v23, 0x3aee, v27
	v_fmac_f16_e32 v25, 0xbaee, v11
	v_sub_f16_e32 v12, v12, v13
	v_pack_b32_f16 v6, v7, v21
	v_add_f16_e32 v7, v15, v9
	v_add_f16_e32 v13, v14, v24
	;; [unrolled: 1-line block ×4, first 2 shown]
	v_sub_f16_e32 v9, v15, v9
	v_sub_f16_e32 v10, v10, v23
	;; [unrolled: 1-line block ×4, first 2 shown]
	v_pack_b32_f16 v7, v7, v13
	v_pack_b32_f16 v8, v8, v12
	;; [unrolled: 1-line block ×5, first 2 shown]
	ds_store_2addr_b32 v16, v6, v7 offset1:16
	ds_store_2addr_b32 v16, v11, v8 offset0:32 offset1:48
	ds_store_2addr_b32 v16, v9, v10 offset0:64 offset1:80
	s_waitcnt lgkmcnt(0)
	s_barrier
	buffer_gl0_inv
	s_clause 0x1
	global_load_b128 v[6:9], v19, s[8:9] offset:320
	global_load_b32 v16, v19, s[8:9] offset:336
	ds_load_2addr_b32 v[10:11], v0 offset1:96
	ds_load_2addr_b32 v[12:13], v18 offset0:64 offset1:160
	ds_load_2addr_b32 v[14:15], v22 offset0:128 offset1:224
	s_waitcnt vmcnt(0) lgkmcnt(0)
	s_barrier
	buffer_gl0_inv
	v_lshrrev_b32_e32 v19, 16, v11
	v_lshrrev_b32_e32 v20, 16, v12
	;; [unrolled: 1-line block ×11, first 2 shown]
	v_mul_f16_e32 v30, v25, v19
	v_mul_f16_e32 v25, v25, v11
	;; [unrolled: 1-line block ×10, first 2 shown]
	v_fma_f16 v11, v6, v11, -v30
	v_fmac_f16_e32 v25, v6, v19
	v_fma_f16 v6, v7, v12, -v31
	v_fmac_f16_e32 v26, v7, v20
	;; [unrolled: 2-line block ×5, first 2 shown]
	v_add_f16_e32 v12, v10, v6
	v_add_f16_e32 v13, v6, v8
	;; [unrolled: 1-line block ×5, first 2 shown]
	v_sub_f16_e32 v14, v26, v28
	v_add_f16_e32 v15, v17, v26
	v_sub_f16_e32 v6, v6, v8
	v_add_f16_e32 v19, v11, v7
	;; [unrolled: 2-line block ×3, first 2 shown]
	v_sub_f16_e32 v7, v7, v9
	v_fmac_f16_e32 v10, -0.5, v13
	v_fmac_f16_e32 v17, -0.5, v16
	;; [unrolled: 1-line block ×4, first 2 shown]
	v_add_f16_e32 v8, v12, v8
	v_add_f16_e32 v12, v15, v28
	;; [unrolled: 1-line block ×3, first 2 shown]
	v_fmamk_f16 v15, v14, 0x3aee, v10
	v_fmac_f16_e32 v10, 0xbaee, v14
	v_fmamk_f16 v14, v6, 0xbaee, v17
	v_fmac_f16_e32 v17, 0x3aee, v6
	v_fmamk_f16 v6, v21, 0x3aee, v11
	v_fmamk_f16 v16, v7, 0xbaee, v25
	v_fmac_f16_e32 v11, 0xbaee, v21
	v_fmac_f16_e32 v25, 0x3aee, v7
	v_add_f16_e32 v13, v23, v29
	v_add_f16_e32 v7, v8, v9
	v_sub_f16_e32 v8, v8, v9
	v_mul_f16_e32 v9, 0x3aee, v16
	v_mul_f16_e32 v21, 0xbaee, v6
	v_mul_f16_e32 v20, -0.5, v11
	v_mul_f16_e32 v23, -0.5, v25
	v_add_f16_e32 v19, v12, v13
	v_fmac_f16_e32 v9, 0.5, v6
	v_fmac_f16_e32 v21, 0.5, v16
	v_fmac_f16_e32 v20, 0x3aee, v25
	v_fmac_f16_e32 v23, 0xbaee, v11
	v_sub_f16_e32 v12, v12, v13
	v_pack_b32_f16 v6, v7, v19
	v_add_f16_e32 v7, v15, v9
	v_add_f16_e32 v13, v14, v21
	;; [unrolled: 1-line block ×4, first 2 shown]
	v_sub_f16_e32 v9, v15, v9
	v_sub_f16_e32 v10, v10, v20
	;; [unrolled: 1-line block ×4, first 2 shown]
	v_pack_b32_f16 v7, v7, v13
	v_pack_b32_f16 v8, v8, v12
	v_pack_b32_f16 v11, v11, v16
	v_pack_b32_f16 v9, v9, v14
	v_pack_b32_f16 v10, v10, v15
	ds_store_2addr_b32 v0, v6, v7 offset1:96
	ds_store_2addr_b32 v18, v11, v8 offset0:64 offset1:160
	ds_store_2addr_b32 v22, v9, v10 offset0:128 offset1:224
	s_waitcnt lgkmcnt(0)
	s_barrier
	buffer_gl0_inv
	s_and_saveexec_b32 s0, vcc_lo
	s_cbranch_execz .LBB0_23
; %bb.22:
	v_mul_lo_u32 v0, s3, v3
	v_mul_lo_u32 v4, s2, v4
	v_mad_u64_u32 v[7:8], null, s2, v3, 0
	v_dual_mov_b32 v6, 0 :: v_dual_add_nc_u32 v9, 0xc0, v5
	v_lshl_add_u32 v17, v5, 2, 0
	s_delay_alu instid0(VALU_DEP_2) | instskip(NEXT) | instid1(VALU_DEP_4)
	v_dual_mov_b32 v10, v6 :: v_dual_add_nc_u32 v11, 0x120, v5
	v_add3_u32 v8, v8, v4, v0
	v_lshlrev_b64 v[0:1], 2, v[1:2]
	v_dual_mov_b32 v3, v6 :: v_dual_add_nc_u32 v2, 0x60, v5
	v_lshlrev_b64 v[15:16], 2, v[5:6]
	s_delay_alu instid0(VALU_DEP_4)
	v_lshlrev_b64 v[7:8], 2, v[7:8]
	ds_load_2addr_b32 v[13:14], v17 offset1:96
	v_mov_b32_e32 v12, v6
	v_lshlrev_b64 v[9:10], 2, v[9:10]
	v_add_co_u32 v4, vcc_lo, s6, v7
	v_add_co_ci_u32_e32 v7, vcc_lo, s7, v8, vcc_lo
	v_add_nc_u32_e32 v8, 0x200, v17
	s_delay_alu instid0(VALU_DEP_3) | instskip(NEXT) | instid1(VALU_DEP_3)
	v_add_co_u32 v19, vcc_lo, v4, v0
	v_add_co_ci_u32_e32 v20, vcc_lo, v7, v1, vcc_lo
	v_add_nc_u32_e32 v4, 0x400, v17
	v_lshlrev_b64 v[0:1], 2, v[2:3]
	s_delay_alu instid0(VALU_DEP_4)
	v_add_co_u32 v2, vcc_lo, v19, v15
	v_add_nc_u32_e32 v15, 0x180, v5
	ds_load_2addr_b32 v[7:8], v8 offset0:64 offset1:160
	v_add_co_ci_u32_e32 v3, vcc_lo, v20, v16, vcc_lo
	v_dual_mov_b32 v16, v6 :: v_dual_add_nc_u32 v5, 0x1e0, v5
	ds_load_2addr_b32 v[17:18], v4 offset0:128 offset1:224
	v_add_co_u32 v0, vcc_lo, v19, v0
	v_lshlrev_b64 v[11:12], 2, v[11:12]
	v_add_co_ci_u32_e32 v1, vcc_lo, v20, v1, vcc_lo
	v_add_co_u32 v9, vcc_lo, v19, v9
	v_lshlrev_b64 v[15:16], 2, v[15:16]
	v_add_co_ci_u32_e32 v10, vcc_lo, v20, v10, vcc_lo
	;; [unrolled: 3-line block ×3, first 2 shown]
	v_add_co_u32 v15, vcc_lo, v19, v15
	v_add_co_ci_u32_e32 v16, vcc_lo, v20, v16, vcc_lo
	s_delay_alu instid0(VALU_DEP_4)
	v_add_co_u32 v4, vcc_lo, v19, v4
	v_add_co_ci_u32_e32 v5, vcc_lo, v20, v5, vcc_lo
	s_waitcnt lgkmcnt(2)
	s_clause 0x1
	global_store_b32 v[2:3], v13, off
	global_store_b32 v[0:1], v14, off
	s_waitcnt lgkmcnt(1)
	s_clause 0x1
	global_store_b32 v[9:10], v7, off
	global_store_b32 v[11:12], v8, off
	s_waitcnt lgkmcnt(0)
	s_clause 0x1
	global_store_b32 v[15:16], v17, off
	global_store_b32 v[4:5], v18, off
.LBB0_23:
	s_nop 0
	s_sendmsg sendmsg(MSG_DEALLOC_VGPRS)
	s_endpgm
	.section	.rodata,"a",@progbits
	.p2align	6, 0x0
	.amdhsa_kernel fft_rtc_fwd_len576_factors_16_6_6_wgs_96_tpt_96_halfLds_half_op_CI_CI_unitstride_sbrr_C2R_dirReg
		.amdhsa_group_segment_fixed_size 0
		.amdhsa_private_segment_fixed_size 0
		.amdhsa_kernarg_size 104
		.amdhsa_user_sgpr_count 15
		.amdhsa_user_sgpr_dispatch_ptr 0
		.amdhsa_user_sgpr_queue_ptr 0
		.amdhsa_user_sgpr_kernarg_segment_ptr 1
		.amdhsa_user_sgpr_dispatch_id 0
		.amdhsa_user_sgpr_private_segment_size 0
		.amdhsa_wavefront_size32 1
		.amdhsa_uses_dynamic_stack 0
		.amdhsa_enable_private_segment 0
		.amdhsa_system_sgpr_workgroup_id_x 1
		.amdhsa_system_sgpr_workgroup_id_y 0
		.amdhsa_system_sgpr_workgroup_id_z 0
		.amdhsa_system_sgpr_workgroup_info 0
		.amdhsa_system_vgpr_workitem_id 0
		.amdhsa_next_free_vgpr 45
		.amdhsa_next_free_sgpr 27
		.amdhsa_reserve_vcc 1
		.amdhsa_float_round_mode_32 0
		.amdhsa_float_round_mode_16_64 0
		.amdhsa_float_denorm_mode_32 3
		.amdhsa_float_denorm_mode_16_64 3
		.amdhsa_dx10_clamp 1
		.amdhsa_ieee_mode 1
		.amdhsa_fp16_overflow 0
		.amdhsa_workgroup_processor_mode 1
		.amdhsa_memory_ordered 1
		.amdhsa_forward_progress 0
		.amdhsa_shared_vgpr_count 0
		.amdhsa_exception_fp_ieee_invalid_op 0
		.amdhsa_exception_fp_denorm_src 0
		.amdhsa_exception_fp_ieee_div_zero 0
		.amdhsa_exception_fp_ieee_overflow 0
		.amdhsa_exception_fp_ieee_underflow 0
		.amdhsa_exception_fp_ieee_inexact 0
		.amdhsa_exception_int_div_zero 0
	.end_amdhsa_kernel
	.text
.Lfunc_end0:
	.size	fft_rtc_fwd_len576_factors_16_6_6_wgs_96_tpt_96_halfLds_half_op_CI_CI_unitstride_sbrr_C2R_dirReg, .Lfunc_end0-fft_rtc_fwd_len576_factors_16_6_6_wgs_96_tpt_96_halfLds_half_op_CI_CI_unitstride_sbrr_C2R_dirReg
                                        ; -- End function
	.section	.AMDGPU.csdata,"",@progbits
; Kernel info:
; codeLenInByte = 5252
; NumSgprs: 29
; NumVgprs: 45
; ScratchSize: 0
; MemoryBound: 0
; FloatMode: 240
; IeeeMode: 1
; LDSByteSize: 0 bytes/workgroup (compile time only)
; SGPRBlocks: 3
; VGPRBlocks: 5
; NumSGPRsForWavesPerEU: 29
; NumVGPRsForWavesPerEU: 45
; Occupancy: 16
; WaveLimiterHint : 1
; COMPUTE_PGM_RSRC2:SCRATCH_EN: 0
; COMPUTE_PGM_RSRC2:USER_SGPR: 15
; COMPUTE_PGM_RSRC2:TRAP_HANDLER: 0
; COMPUTE_PGM_RSRC2:TGID_X_EN: 1
; COMPUTE_PGM_RSRC2:TGID_Y_EN: 0
; COMPUTE_PGM_RSRC2:TGID_Z_EN: 0
; COMPUTE_PGM_RSRC2:TIDIG_COMP_CNT: 0
	.text
	.p2alignl 7, 3214868480
	.fill 96, 4, 3214868480
	.type	__hip_cuid_3c7c177123a3209d,@object ; @__hip_cuid_3c7c177123a3209d
	.section	.bss,"aw",@nobits
	.globl	__hip_cuid_3c7c177123a3209d
__hip_cuid_3c7c177123a3209d:
	.byte	0                               ; 0x0
	.size	__hip_cuid_3c7c177123a3209d, 1

	.ident	"AMD clang version 19.0.0git (https://github.com/RadeonOpenCompute/llvm-project roc-6.4.0 25133 c7fe45cf4b819c5991fe208aaa96edf142730f1d)"
	.section	".note.GNU-stack","",@progbits
	.addrsig
	.addrsig_sym __hip_cuid_3c7c177123a3209d
	.amdgpu_metadata
---
amdhsa.kernels:
  - .args:
      - .actual_access:  read_only
        .address_space:  global
        .offset:         0
        .size:           8
        .value_kind:     global_buffer
      - .offset:         8
        .size:           8
        .value_kind:     by_value
      - .actual_access:  read_only
        .address_space:  global
        .offset:         16
        .size:           8
        .value_kind:     global_buffer
      - .actual_access:  read_only
        .address_space:  global
        .offset:         24
        .size:           8
        .value_kind:     global_buffer
      - .actual_access:  read_only
        .address_space:  global
        .offset:         32
        .size:           8
        .value_kind:     global_buffer
      - .offset:         40
        .size:           8
        .value_kind:     by_value
      - .actual_access:  read_only
        .address_space:  global
        .offset:         48
        .size:           8
        .value_kind:     global_buffer
      - .actual_access:  read_only
        .address_space:  global
        .offset:         56
        .size:           8
        .value_kind:     global_buffer
      - .offset:         64
        .size:           4
        .value_kind:     by_value
      - .actual_access:  read_only
        .address_space:  global
        .offset:         72
        .size:           8
        .value_kind:     global_buffer
      - .actual_access:  read_only
        .address_space:  global
        .offset:         80
        .size:           8
        .value_kind:     global_buffer
      - .actual_access:  read_only
        .address_space:  global
        .offset:         88
        .size:           8
        .value_kind:     global_buffer
      - .actual_access:  write_only
        .address_space:  global
        .offset:         96
        .size:           8
        .value_kind:     global_buffer
    .group_segment_fixed_size: 0
    .kernarg_segment_align: 8
    .kernarg_segment_size: 104
    .language:       OpenCL C
    .language_version:
      - 2
      - 0
    .max_flat_workgroup_size: 96
    .name:           fft_rtc_fwd_len576_factors_16_6_6_wgs_96_tpt_96_halfLds_half_op_CI_CI_unitstride_sbrr_C2R_dirReg
    .private_segment_fixed_size: 0
    .sgpr_count:     29
    .sgpr_spill_count: 0
    .symbol:         fft_rtc_fwd_len576_factors_16_6_6_wgs_96_tpt_96_halfLds_half_op_CI_CI_unitstride_sbrr_C2R_dirReg.kd
    .uniform_work_group_size: 1
    .uses_dynamic_stack: false
    .vgpr_count:     45
    .vgpr_spill_count: 0
    .wavefront_size: 32
    .workgroup_processor_mode: 1
amdhsa.target:   amdgcn-amd-amdhsa--gfx1100
amdhsa.version:
  - 1
  - 2
...

	.end_amdgpu_metadata
